;; amdgpu-corpus repo=ROCm/rocFFT kind=compiled arch=gfx1201 opt=O3
	.text
	.amdgcn_target "amdgcn-amd-amdhsa--gfx1201"
	.amdhsa_code_object_version 6
	.protected	fft_rtc_back_len1331_factors_11_11_11_wgs_121_tpt_121_dp_op_CI_CI_sbrc_z_xy_unaligned ; -- Begin function fft_rtc_back_len1331_factors_11_11_11_wgs_121_tpt_121_dp_op_CI_CI_sbrc_z_xy_unaligned
	.globl	fft_rtc_back_len1331_factors_11_11_11_wgs_121_tpt_121_dp_op_CI_CI_sbrc_z_xy_unaligned
	.p2align	8
	.type	fft_rtc_back_len1331_factors_11_11_11_wgs_121_tpt_121_dp_op_CI_CI_sbrc_z_xy_unaligned,@function
fft_rtc_back_len1331_factors_11_11_11_wgs_121_tpt_121_dp_op_CI_CI_sbrc_z_xy_unaligned: ; @fft_rtc_back_len1331_factors_11_11_11_wgs_121_tpt_121_dp_op_CI_CI_sbrc_z_xy_unaligned
; %bb.0:
	s_load_b256 s[4:11], s[0:1], 0x0
	v_cmp_gt_u32_e32 vcc_lo, 0x3c8, v0
	v_dual_mov_b32 v77, 0 :: v_dual_mov_b32 v2, 0x1e4
	v_mov_b32_e32 v3, 0x25d
	v_mov_b32_e32 v32, 0x3c8
	v_lshl_add_u32 v100, v0, 4, 0
	s_mov_b32 s26, 0x640f44db
	s_mov_b32 s27, 0xbfc2375f
	;; [unrolled: 1-line block ×13, first 2 shown]
	s_wait_kmcnt 0x0
	s_load_b128 s[16:19], s[8:9], 0x8
	s_wait_kmcnt 0x0
	s_mov_b32 s17, 0
	s_mov_b32 s47, 0x3fd207e7
	;; [unrolled: 1-line block ×7, first 2 shown]
	s_mul_i32 s2, s18, s16
	s_cvt_f32_u32 s8, s16
	s_cvt_f32_u32 s3, s2
	s_sub_co_i32 s12, 0, s2
	s_delay_alu instid0(SALU_CYCLE_1) | instskip(NEXT) | instid1(SALU_CYCLE_1)
	v_rcp_iflag_f32_e32 v5, s8
	v_rcp_iflag_f32_e32 v1, s3
	s_delay_alu instid0(TRANS32_DEP_1) | instskip(SKIP_1) | instid1(VALU_DEP_2)
	v_readfirstlane_b32 s3, v1
	v_mov_b32_e32 v1, 0x16b
	s_mul_f32 s3, s3, 0x4f7ffffe
	s_delay_alu instid0(VALU_DEP_1)
	v_cndmask_b32_e32 v1, 0xfffffc38, v1, vcc_lo
	v_cmp_gt_u32_e32 vcc_lo, 0x34f, v0
	v_mov_b32_e32 v4, 0x2d6
	s_wait_alu 0xfffe
	s_cvt_u32_f32 s3, s3
	s_wait_alu 0xfffd
	v_dual_cndmask_b32 v2, 0xfffffcb1, v2 :: v_dual_add_nc_u32 v25, v0, v1
	s_wait_alu 0xfffe
	s_mul_i32 s8, s12, s3
	s_clause 0x1
	s_load_b128 s[12:15], s[0:1], 0x58
	s_load_b64 s[20:21], s[0:1], 0x20
	s_mul_hi_u32 s0, s3, s8
	v_cmp_gt_u32_e32 vcc_lo, 0x2d6, v0
	s_add_co_i32 s3, s3, s0
	s_load_b32 s24, s[10:11], 0x10
	s_mul_hi_u32 s0, ttmp9, s3
	v_readfirstlane_b32 s3, v5
	s_mul_i32 s1, s0, s2
	s_add_co_i32 s8, s0, 1
	s_sub_co_i32 s1, ttmp9, s1
	v_cndmask_b32_e32 v3, 0xfffffd2a, v3, vcc_lo
	s_sub_co_i32 s18, s1, s2
	s_cmp_ge_u32 s1, s2
	s_mul_f32 s3, s3, 0x4f7ffffe
	s_wait_alu 0xfffe
	s_cselect_b32 s0, s8, s0
	s_cselect_b32 s1, s18, s1
	s_add_co_i32 s8, s0, 1
	s_cmp_ge_u32 s1, s2
	s_cvt_u32_f32 s1, s3
	s_wait_alu 0xfffe
	s_cselect_b32 s8, s8, s0
	s_sub_co_i32 s0, 0, s16
	s_wait_alu 0xfffe
	s_mul_i32 s2, s8, s2
	s_mul_i32 s0, s0, s1
	s_wait_alu 0xfffe
	s_sub_co_i32 s18, ttmp9, s2
	s_mul_hi_u32 s0, s1, s0
	v_add_nc_u32_e32 v27, v0, v3
	s_add_co_i32 s22, s1, s0
	s_load_b128 s[0:3], s[10:11], 0x0
	s_mul_hi_u32 s23, s18, s22
	v_cmp_gt_u32_e32 vcc_lo, 0x25d, v0
	s_wait_kmcnt 0x0
	s_mul_i32 s3, s23, s16
	s_mul_hi_u32 s22, ttmp9, s22
	s_wait_alu 0xfffe
	s_sub_co_i32 s3, s18, s3
	s_add_co_i32 s18, s23, 1
	s_wait_alu 0xfffe
	s_sub_co_i32 s25, s3, s16
	s_cmp_ge_u32 s3, s16
	s_wait_alu 0xfffd
	v_cndmask_b32_e32 v4, 0xfffffda3, v4, vcc_lo
	s_cselect_b32 s18, s18, s23
	s_cselect_b32 s3, s25, s3
	s_add_co_i32 s23, s18, 1
	s_wait_alu 0xfffe
	s_cmp_ge_u32 s3, s16
	s_mul_i32 s22, s22, s16
	s_cselect_b32 s33, s23, s18
	s_sub_co_i32 s3, ttmp9, s22
	v_add_nc_u32_e32 v26, v0, v2
	s_wait_alu 0xfffe
	s_sub_co_i32 s18, s3, s16
	v_add_nc_u32_e32 v28, v0, v4
	v_mad_co_u64_u32 v[17:18], null, s0, v27, 0
	v_add_nc_u32_e32 v16, 0x79, v0
	v_mad_co_u64_u32 v[1:2], null, s0, v0, 0
	s_cmp_ge_u32 s3, s16
	v_mad_co_u64_u32 v[7:8], null, s0, v25, 0
	s_delay_alu instid0(VALU_DEP_4)
	v_mov_b32_e32 v13, v18
	v_mad_co_u64_u32 v[3:4], null, s0, v16, 0
	s_cselect_b32 s3, s18, s3
	v_mad_co_u64_u32 v[9:10], null, s0, v26, 0
	s_wait_alu 0xfffe
	s_sub_co_i32 s18, s3, s16
	s_cmp_ge_u32 s3, s16
	v_cmp_lt_u32_e32 vcc_lo, 0x3c7, v0
	s_cselect_b32 s22, s18, s3
	s_lshl_b64 s[6:7], s[6:7], 3
	v_mad_co_u64_u32 v[14:15], null, s1, v0, v[2:3]
	s_add_nc_u64 s[10:11], s[10:11], s[6:7]
	v_add_nc_u32_e32 v23, 0xf2, v0
	s_load_b64 s[10:11], s[10:11], 0x0
	v_cndmask_b32_e64 v76, 0, s2, vcc_lo
	s_mul_i32 s3, s33, s24
	s_mul_i32 s16, s22, s2
	s_delay_alu instid0(VALU_DEP_3)
	v_mov_b32_e32 v2, v14
	v_mad_co_u64_u32 v[5:6], null, s0, v23, 0
	v_lshlrev_b64_e32 v[11:12], 4, v[76:77]
	s_wait_alu 0xfffe
	s_add_co_i32 s18, s16, s3
	v_lshlrev_b64_e32 v[1:2], 4, v[1:2]
	v_cmp_lt_u32_e32 vcc_lo, 0x34e, v0
	s_lshl_b64 s[18:19], s[18:19], 4
	v_mad_co_u64_u32 v[19:20], null, s0, v28, 0
	v_mad_co_u64_u32 v[15:16], null, s1, v16, v[4:5]
	;; [unrolled: 1-line block ×4, first 2 shown]
	s_wait_kmcnt 0x0
	s_mul_u64 s[10:11], s[10:11], s[8:9]
	v_mad_co_u64_u32 v[25:26], null, s1, v26, v[10:11]
	s_delay_alu instid0(VALU_DEP_4) | instskip(SKIP_1) | instid1(VALU_DEP_4)
	v_mov_b32_e32 v4, v15
	s_lshl_b64 s[10:11], s[10:11], 4
	v_mov_b32_e32 v6, v23
	s_delay_alu instid0(VALU_DEP_4)
	v_mov_b32_e32 v8, v24
	s_add_nc_u64 s[10:11], s[12:13], s[10:11]
	v_lshlrev_b64_e32 v[3:4], 4, v[3:4]
	s_add_nc_u64 s[10:11], s[10:11], s[18:19]
	v_mad_co_u64_u32 v[26:27], null, s1, v27, v[13:14]
	v_mov_b32_e32 v27, 0x34f
	s_wait_alu 0xfffd
	v_cndmask_b32_e64 v76, 0, s2, vcc_lo
	v_lshlrev_b64_e32 v[7:8], 4, v[7:8]
	v_add_co_u32 v1, vcc_lo, s10, v1
	s_wait_alu 0xfffd
	v_add_co_ci_u32_e32 v2, vcc_lo, s11, v2, vcc_lo
	v_lshlrev_b64_e32 v[5:6], 4, v[5:6]
	v_add_co_u32 v13, vcc_lo, s10, v3
	v_mov_b32_e32 v10, v25
	s_wait_alu 0xfffd
	v_add_co_ci_u32_e32 v14, vcc_lo, s11, v4, vcc_lo
	v_add_co_u32 v3, vcc_lo, s10, v7
	s_wait_alu 0xfffd
	v_add_co_ci_u32_e32 v4, vcc_lo, s11, v8, vcc_lo
	v_lshlrev_b64_e32 v[9:10], 4, v[9:10]
	v_add_co_u32 v15, vcc_lo, s10, v5
	s_wait_alu 0xfffd
	v_add_co_ci_u32_e32 v16, vcc_lo, s11, v6, vcc_lo
	v_add_co_u32 v23, vcc_lo, v3, v11
	s_wait_alu 0xfffd
	v_add_co_ci_u32_e32 v24, vcc_lo, v4, v12, vcc_lo
	v_add_co_u32 v25, vcc_lo, s10, v9
	v_lshlrev_b64_e32 v[21:22], 4, v[76:77]
	v_mov_b32_e32 v18, v26
	s_wait_alu 0xfffd
	v_add_co_ci_u32_e32 v26, vcc_lo, s11, v10, vcc_lo
	v_cmp_lt_u32_e32 vcc_lo, 0x2d5, v0
	s_clause 0x3
	global_load_b128 v[1:4], v[1:2], off
	global_load_b128 v[5:8], v[13:14], off
	;; [unrolled: 1-line block ×4, first 2 shown]
	v_lshlrev_b64_e32 v[17:18], 4, v[17:18]
	s_add_nc_u64 s[6:7], s[20:21], s[6:7]
	s_mov_b32 s12, 0xf8bb580b
	s_wait_alu 0xfffd
	v_cndmask_b32_e64 v76, 0, s2, vcc_lo
	v_add_co_u32 v21, vcc_lo, v25, v21
	s_wait_alu 0xfffd
	v_add_co_ci_u32_e32 v22, vcc_lo, v26, v22, vcc_lo
	v_cmp_gt_u32_e32 vcc_lo, 0x1e4, v0
	v_lshlrev_b64_e32 v[23:24], 4, v[76:77]
	v_mad_co_u64_u32 v[25:26], null, s1, v28, v[20:21]
	s_mov_b32 s18, 0xd9c712b6
	s_wait_alu 0xfffd
	v_cndmask_b32_e32 v20, 0xfffffe1c, v27, vcc_lo
	v_add_co_u32 v17, vcc_lo, s10, v17
	s_wait_alu 0xfffd
	v_add_co_ci_u32_e32 v18, vcc_lo, s11, v18, vcc_lo
	s_delay_alu instid0(VALU_DEP_3) | instskip(NEXT) | instid1(VALU_DEP_3)
	v_add_nc_u32_e32 v31, v0, v20
	v_add_co_u32 v23, vcc_lo, v17, v23
	s_wait_alu 0xfffd
	s_delay_alu instid0(VALU_DEP_3) | instskip(SKIP_4) | instid1(VALU_DEP_3)
	v_add_co_ci_u32_e32 v24, vcc_lo, v18, v24, vcc_lo
	v_mov_b32_e32 v20, v25
	v_cmp_lt_u32_e32 vcc_lo, 0x25c, v0
	v_mad_co_u64_u32 v[25:26], null, s0, v31, 0
	s_mov_b32 s13, 0xbfe14ced
	v_lshlrev_b64_e32 v[27:28], 4, v[19:20]
	s_wait_alu 0xfffd
	v_cndmask_b32_e64 v76, 0, s2, vcc_lo
	v_cmp_gt_u32_e32 vcc_lo, 0x16b, v0
	s_clause 0x1
	global_load_b128 v[17:20], v[21:22], off
	global_load_b128 v[21:24], v[23:24], off
	s_mov_b32 s19, 0x3fda9628
	s_mov_b32 s34, s12
	v_lshlrev_b64_e32 v[29:30], 4, v[76:77]
	s_wait_alu 0xfffd
	v_cndmask_b32_e32 v32, 0xfffffe95, v32, vcc_lo
	v_add_co_u32 v33, vcc_lo, s10, v27
	s_wait_alu 0xfffd
	v_add_co_ci_u32_e32 v28, vcc_lo, s11, v28, vcc_lo
	v_mad_co_u64_u32 v[26:27], null, s1, v31, v[26:27]
	s_delay_alu instid0(VALU_DEP_3) | instskip(SKIP_1) | instid1(VALU_DEP_3)
	v_add_co_u32 v27, vcc_lo, v33, v29
	s_wait_alu 0xfffd
	v_add_co_ci_u32_e32 v28, vcc_lo, v28, v30, vcc_lo
	v_mov_b32_e32 v31, 0x441
	v_cmp_gt_u32_e32 vcc_lo, 0xf2, v0
	v_add_nc_u32_e32 v34, v0, v32
	v_mov_b32_e32 v32, 0x4ba
	v_lshlrev_b64_e32 v[25:26], 4, v[25:26]
	s_mov_b32 s23, s17
	s_wait_alu 0xfffd
	v_cndmask_b32_e32 v31, 0xffffff0e, v31, vcc_lo
	v_cmp_gt_u32_e32 vcc_lo, 0x79, v0
	v_mad_co_u64_u32 v[29:30], null, s0, v34, 0
	s_delay_alu instid0(VALU_DEP_3) | instskip(SKIP_3) | instid1(VALU_DEP_2)
	v_add_nc_u32_e32 v38, v0, v31
	s_wait_alu 0xfffd
	v_cndmask_b32_e32 v32, 0xffffff87, v32, vcc_lo
	v_cmp_lt_u32_e32 vcc_lo, 0x1e3, v0
	v_add_nc_u32_e32 v39, v0, v32
	v_mad_co_u64_u32 v[31:32], null, s0, v38, 0
	s_wait_alu 0xfffd
	v_cndmask_b32_e64 v76, 0, s2, vcc_lo
	v_add_co_u32 v40, vcc_lo, s10, v25
	s_wait_alu 0xfffd
	v_add_co_ci_u32_e32 v41, vcc_lo, s11, v26, vcc_lo
	v_cmp_lt_u32_e32 vcc_lo, 0x16a, v0
	v_mad_co_u64_u32 v[33:34], null, s1, v34, v[30:31]
	v_mad_co_u64_u32 v[34:35], null, s0, v39, 0
	v_mov_b32_e32 v25, v32
	v_lshlrev_b64_e32 v[36:37], 4, v[76:77]
	s_wait_alu 0xfffd
	v_cndmask_b32_e64 v76, 0, s2, vcc_lo
	v_mov_b32_e32 v30, v33
	v_mad_co_u64_u32 v[25:26], null, s1, v38, v[25:26]
	v_mov_b32_e32 v26, v35
	v_add_co_u32 v36, vcc_lo, v40, v36
	s_delay_alu instid0(VALU_DEP_4) | instskip(SKIP_4) | instid1(VALU_DEP_4)
	v_lshlrev_b64_e32 v[29:30], 4, v[29:30]
	s_wait_alu 0xfffd
	v_add_co_ci_u32_e32 v37, vcc_lo, v41, v37, vcc_lo
	v_mad_co_u64_u32 v[38:39], null, s1, v39, v[26:27]
	v_lshlrev_b64_e32 v[39:40], 4, v[76:77]
	v_add_co_u32 v29, vcc_lo, s10, v29
	v_mov_b32_e32 v32, v25
	s_wait_alu 0xfffd
	v_add_co_ci_u32_e32 v30, vcc_lo, s11, v30, vcc_lo
	v_mov_b32_e32 v35, v38
	v_add_co_u32 v38, vcc_lo, v29, v39
	v_lshlrev_b64_e32 v[25:26], 4, v[31:32]
	s_wait_alu 0xfffd
	v_add_co_ci_u32_e32 v39, vcc_lo, v30, v40, vcc_lo
	v_cmp_lt_u32_e32 vcc_lo, 0xf1, v0
	v_lshlrev_b64_e32 v[29:30], 4, v[34:35]
	s_wait_alu 0xfffd
	v_cndmask_b32_e64 v76, 0, s2, vcc_lo
	v_add_co_u32 v31, vcc_lo, s10, v25
	s_wait_alu 0xfffd
	v_add_co_ci_u32_e32 v32, vcc_lo, s11, v26, vcc_lo
	v_cmp_lt_u32_e32 vcc_lo, 0x78, v0
	v_lshlrev_b64_e32 v[25:26], 4, v[76:77]
	s_wait_alu 0xfffd
	v_cndmask_b32_e64 v76, 0, s2, vcc_lo
	v_add_co_u32 v33, vcc_lo, s10, v29
	s_wait_alu 0xfffd
	v_add_co_ci_u32_e32 v34, vcc_lo, s11, v30, vcc_lo
	s_delay_alu instid0(VALU_DEP_3) | instskip(SKIP_4) | instid1(VALU_DEP_3)
	v_lshlrev_b64_e32 v[29:30], 4, v[76:77]
	v_add_co_u32 v25, vcc_lo, v31, v25
	s_wait_alu 0xfffd
	v_add_co_ci_u32_e32 v26, vcc_lo, v32, v26, vcc_lo
	s_mov_b32 s10, 0x8eee2c13
	v_add_co_u32 v46, vcc_lo, v33, v29
	s_wait_alu 0xfffd
	v_add_co_ci_u32_e32 v47, vcc_lo, v34, v30, vcc_lo
	s_clause 0x4
	global_load_b128 v[30:33], v[27:28], off
	global_load_b128 v[34:37], v[36:37], off
	;; [unrolled: 1-line block ×5, first 2 shown]
	v_mul_u32_u24_e32 v25, 0x21e, v0
	s_clause 0x1
	s_load_b128 s[0:3], s[20:21], 0x0
	s_load_b64 s[24:25], s[6:7], 0x0
	s_wait_kmcnt 0x0
	s_load_b32 s3, s[20:21], 0x10
	s_mov_b32 s6, 0x8764f0ba
	v_lshrrev_b32_e32 v25, 16, v25
	s_mov_b32 s7, 0x3feaeb8c
	s_mov_b32 s11, 0xbfed1bb4
	s_mov_b32 s20, 0x43842ef
	s_mov_b32 s21, 0xbfefac9e
	v_mul_lo_u16 v25, 0x79, v25
	s_mov_b32 s36, s10
	s_mov_b32 s42, s20
	s_wait_loadcnt 0xa
	ds_store_b128 v100, v[1:4]
	s_wait_loadcnt 0x9
	ds_store_b128 v100, v[5:8] offset:1936
	s_wait_loadcnt 0x8
	ds_store_b128 v100, v[9:12] offset:3872
	;; [unrolled: 2-line block ×10, first 2 shown]
	v_sub_nc_u16 v25, v0, v25
	global_wb scope:SCOPE_SE
	s_wait_dscnt 0x0
	s_wait_kmcnt 0x0
	s_barrier_signal -1
	s_barrier_wait -1
	global_inv scope:SCOPE_SE
	v_and_b32_e32 v29, 0xffff, v25
	s_mul_u64 s[0:1], s[0:1], s[22:23]
	s_mul_i32 s16, s33, s2
	s_wait_alu 0xfffe
	s_lshl_b64 s[0:1], s[0:1], 4
	s_lshl_b64 s[16:17], s[16:17], 4
	v_lshl_add_u32 v101, v29, 4, 0
	ds_load_b128 v[5:8], v101
	ds_load_b128 v[21:24], v101 offset:1936
	ds_load_b128 v[1:4], v101 offset:19360
	;; [unrolled: 1-line block ×10, first 2 shown]
	global_wb scope:SCOPE_SE
	s_wait_dscnt 0x0
	s_barrier_signal -1
	s_barrier_wait -1
	global_inv scope:SCOPE_SE
	s_wait_alu 0xfffe
	s_add_nc_u64 s[0:1], s[14:15], s[0:1]
	s_mul_u64 s[8:9], s[24:25], s[8:9]
	s_wait_alu 0xfffe
	s_add_nc_u64 s[0:1], s[0:1], s[16:17]
	s_lshl_b64 s[8:9], s[8:9], 4
	s_wait_alu 0xfffe
	s_add_nc_u64 s[0:1], s[0:1], s[8:9]
	v_add_f64_e32 v[26:27], v[5:6], v[21:22]
	v_add_f64_e32 v[50:51], v[7:8], v[23:24]
	v_add_f64_e64 v[56:57], v[32:33], -v[11:12]
	v_add_f64_e32 v[58:59], v[32:33], v[11:12]
	v_add_f64_e64 v[52:53], v[23:24], -v[3:4]
	v_add_f64_e32 v[54:55], v[23:24], v[3:4]
	v_add_f64_e64 v[64:65], v[21:22], -v[1:2]
	v_add_f64_e64 v[60:61], v[36:37], -v[15:16]
	v_add_f64_e32 v[62:63], v[36:37], v[15:16]
	v_add_f64_e32 v[66:67], v[38:39], v[17:18]
	;; [unrolled: 1-line block ×3, first 2 shown]
	v_add_f64_e64 v[70:71], v[38:39], -v[17:18]
	v_add_f64_e64 v[72:73], v[40:41], -v[19:20]
	v_add_f64_e32 v[80:81], v[34:35], v[13:14]
	v_add_f64_e64 v[82:83], v[34:35], -v[13:14]
	v_add_f64_e32 v[84:85], v[30:31], v[9:10]
	v_add_f64_e32 v[74:75], v[44:45], v[48:49]
	v_add_f64_e64 v[78:79], v[44:45], -v[48:49]
	v_add_f64_e32 v[23:24], v[42:43], v[46:47]
	v_add_f64_e32 v[26:27], v[26:27], v[30:31]
	;; [unrolled: 1-line block ×4, first 2 shown]
	v_add_f64_e64 v[30:31], v[30:31], -v[9:10]
	v_mul_f64_e32 v[86:87], s[12:13], v[52:53]
	v_mul_f64_e32 v[88:89], s[6:7], v[54:55]
	;; [unrolled: 1-line block ×26, first 2 shown]
	v_add_f64_e64 v[21:22], v[42:43], -v[46:47]
	v_mul_f64_e32 v[62:63], s[30:31], v[62:63]
	v_mul_f64_e32 v[132:133], s[28:29], v[72:73]
	v_mul_f64_e32 v[134:135], s[42:43], v[72:73]
	v_mul_f64_e32 v[136:137], s[12:13], v[72:73]
	v_mul_f64_e32 v[138:139], s[40:41], v[72:73]
	v_mul_f64_e32 v[72:73], s[36:37], v[72:73]
	v_mul_f64_e32 v[140:141], s[30:31], v[68:69]
	v_add_f64_e32 v[26:27], v[26:27], v[34:35]
	v_add_f64_e32 v[32:33], v[32:33], v[36:37]
	v_mul_f64_e32 v[34:35], s[28:29], v[56:57]
	v_mul_f64_e32 v[36:37], s[46:47], v[56:57]
	;; [unrolled: 1-line block ×4, first 2 shown]
	v_fma_f64 v[164:165], v[50:51], s[18:19], v[90:91]
	v_fma_f64 v[166:167], v[64:65], s[36:37], v[92:93]
	v_fma_f64 v[90:91], v[50:51], s[18:19], -v[90:91]
	v_fma_f64 v[168:169], v[50:51], s[26:27], v[94:95]
	v_fma_f64 v[170:171], v[64:65], s[42:43], v[96:97]
	v_fma_f64 v[94:95], v[50:51], s[26:27], -v[94:95]
	;; [unrolled: 3-line block ×3, first 2 shown]
	v_fma_f64 v[176:177], v[50:51], s[38:39], v[52:53]
	v_fma_f64 v[178:179], v[64:65], s[46:47], v[54:55]
	;; [unrolled: 1-line block ×6, first 2 shown]
	v_fma_f64 v[112:113], v[84:85], s[26:27], -v[112:113]
	v_fma_f64 v[190:191], v[30:31], s[40:41], v[116:117]
	v_fma_f64 v[180:181], v[80:81], s[26:27], -v[108:109]
	v_fma_f64 v[192:193], v[80:81], s[18:19], v[122:123]
	;; [unrolled: 2-line block ×4, first 2 shown]
	v_fma_f64 v[60:61], v[80:81], s[30:31], -v[60:61]
	v_mul_f64_e32 v[144:145], s[6:7], v[68:69]
	v_mul_f64_e32 v[146:147], s[38:39], v[68:69]
	;; [unrolled: 1-line block ×8, first 2 shown]
	v_add_f64_e32 v[26:27], v[26:27], v[38:39]
	v_add_f64_e32 v[32:33], v[32:33], v[40:41]
	v_fma_f64 v[38:39], v[50:51], s[6:7], v[86:87]
	v_fma_f64 v[40:41], v[64:65], s[34:35], v[88:89]
	v_fma_f64 v[86:87], v[50:51], s[6:7], -v[86:87]
	v_fma_f64 v[88:89], v[64:65], s[12:13], v[88:89]
	v_fma_f64 v[50:51], v[50:51], s[38:39], -v[52:53]
	v_fma_f64 v[52:53], v[64:65], s[40:41], v[54:55]
	v_fma_f64 v[54:55], v[84:85], s[18:19], -v[104:105]
	v_fma_f64 v[64:65], v[30:31], s[10:11], v[106:107]
	v_fma_f64 v[104:105], v[84:85], s[18:19], v[104:105]
	;; [unrolled: 1-line block ×3, first 2 shown]
	v_fma_f64 v[34:35], v[84:85], s[30:31], -v[34:35]
	v_fma_f64 v[184:185], v[84:85], s[38:39], v[36:37]
	v_fma_f64 v[36:37], v[84:85], s[38:39], -v[36:37]
	v_fma_f64 v[188:189], v[84:85], s[6:7], v[56:57]
	;; [unrolled: 2-line block ×3, first 2 shown]
	v_fma_f64 v[106:107], v[30:31], s[44:45], v[114:115]
	v_add_f64_e32 v[164:165], v[5:6], v[164:165]
	v_add_f64_e32 v[166:167], v[7:8], v[166:167]
	;; [unrolled: 1-line block ×11, first 2 shown]
	v_fma_f64 v[114:115], v[30:31], s[28:29], v[114:115]
	v_add_f64_e32 v[96:97], v[7:8], v[96:97]
	v_add_f64_e32 v[92:93], v[7:8], v[92:93]
	v_mul_f64_e32 v[78:79], s[20:21], v[78:79]
	v_mul_f64_e32 v[158:159], s[30:31], v[74:75]
	;; [unrolled: 1-line block ×5, first 2 shown]
	v_add_f64_e32 v[26:27], v[26:27], v[42:43]
	v_add_f64_e32 v[32:33], v[32:33], v[44:45]
	;; [unrolled: 1-line block ×3, first 2 shown]
	v_fma_f64 v[44:45], v[30:31], s[20:21], v[118:119]
	v_add_f64_e32 v[86:87], v[5:6], v[86:87]
	v_add_f64_e32 v[88:89], v[7:8], v[88:89]
	v_fma_f64 v[42:43], v[30:31], s[46:47], v[116:117]
	v_fma_f64 v[116:117], v[30:31], s[42:43], v[118:119]
	;; [unrolled: 1-line block ×4, first 2 shown]
	v_add_f64_e32 v[5:6], v[5:6], v[50:51]
	v_add_f64_e32 v[50:51], v[7:8], v[52:53]
	;; [unrolled: 1-line block ×4, first 2 shown]
	v_fma_f64 v[58:59], v[80:81], s[26:27], v[108:109]
	v_fma_f64 v[108:109], v[80:81], s[38:39], v[120:121]
	v_fma_f64 v[120:121], v[80:81], s[38:39], -v[120:121]
	v_fma_f64 v[80:81], v[82:83], s[20:21], v[110:111]
	v_fma_f64 v[40:41], v[82:83], s[40:41], v[126:127]
	;; [unrolled: 1-line block ×4, first 2 shown]
	v_add_f64_e32 v[34:35], v[34:35], v[90:91]
	v_add_f64_e32 v[90:91], v[184:185], v[168:169]
	v_fma_f64 v[198:199], v[66:67], s[26:27], v[134:135]
	v_add_f64_e32 v[36:37], v[36:37], v[94:95]
	v_add_f64_e32 v[94:95], v[186:187], v[172:173]
	v_fma_f64 v[200:201], v[66:67], s[6:7], v[136:137]
	v_add_f64_e32 v[98:99], v[112:113], v[98:99]
	v_fma_f64 v[136:137], v[66:67], s[6:7], -v[136:137]
	v_fma_f64 v[202:203], v[66:67], s[38:39], v[138:139]
	v_fma_f64 v[138:139], v[66:67], s[38:39], -v[138:139]
	v_fma_f64 v[134:135], v[66:67], s[26:27], -v[134:135]
	v_add_f64_e32 v[26:27], v[26:27], v[46:47]
	v_add_f64_e32 v[32:33], v[32:33], v[48:49]
	;; [unrolled: 1-line block ×3, first 2 shown]
	v_fma_f64 v[48:49], v[82:83], s[10:11], v[128:129]
	v_add_f64_e32 v[54:55], v[54:55], v[86:87]
	v_add_f64_e32 v[64:65], v[64:65], v[88:89]
	;; [unrolled: 1-line block ×5, first 2 shown]
	v_fma_f64 v[46:47], v[82:83], s[46:47], v[126:127]
	v_fma_f64 v[126:127], v[82:83], s[34:35], v[130:131]
	v_add_f64_e32 v[44:45], v[44:45], v[174:175]
	v_fma_f64 v[128:129], v[82:83], s[12:13], v[130:131]
	v_fma_f64 v[130:131], v[82:83], s[44:45], v[62:63]
	v_add_f64_e32 v[106:107], v[188:189], v[176:177]
	v_add_f64_e32 v[112:113], v[118:119], v[178:179]
	v_fma_f64 v[62:63], v[82:83], s[28:29], v[62:63]
	v_add_f64_e32 v[5:6], v[56:57], v[5:6]
	v_add_f64_e32 v[30:31], v[30:31], v[50:51]
	;; [unrolled: 1-line block ×6, first 2 shown]
	v_fma_f64 v[82:83], v[66:67], s[30:31], -v[132:133]
	v_fma_f64 v[56:57], v[70:71], s[28:29], v[140:141]
	v_fma_f64 v[92:93], v[70:71], s[34:35], v[144:145]
	;; [unrolled: 1-line block ×4, first 2 shown]
	v_add_f64_e32 v[36:37], v[122:123], v[36:37]
	v_fma_f64 v[118:119], v[70:71], s[10:11], v[68:69]
	v_fma_f64 v[68:69], v[70:71], s[36:37], v[68:69]
	;; [unrolled: 1-line block ×4, first 2 shown]
	v_add_f64_e32 v[34:35], v[120:121], v[34:35]
	v_fma_f64 v[84:85], v[70:71], s[42:43], v[142:143]
	v_fma_f64 v[144:145], v[23:24], s[6:7], v[152:153]
	;; [unrolled: 1-line block ×3, first 2 shown]
	v_add_f64_e32 v[17:18], v[26:27], v[17:18]
	v_add_f64_e32 v[19:20], v[32:33], v[19:20]
	v_fma_f64 v[26:27], v[66:67], s[18:19], v[72:73]
	v_fma_f64 v[32:33], v[66:67], s[18:19], -v[72:73]
	v_fma_f64 v[72:73], v[70:71], s[20:21], v[142:143]
	v_add_f64_e32 v[54:55], v[180:181], v[54:55]
	v_add_f64_e32 v[64:65], v[80:81], v[64:65]
	v_add_f64_e32 v[38:39], v[58:59], v[38:39]
	v_add_f64_e32 v[58:59], v[108:109], v[86:87]
	v_add_f64_e32 v[40:41], v[40:41], v[88:89]
	v_add_f64_e32 v[80:81], v[192:193], v[90:91]
	v_add_f64_e32 v[48:49], v[48:49], v[104:105]
	v_add_f64_e32 v[86:87], v[194:195], v[94:95]
	v_add_f64_e32 v[44:45], v[126:127], v[44:45]
	v_add_f64_e32 v[90:91], v[196:197], v[106:107]
	v_add_f64_e32 v[94:95], v[130:131], v[112:113]
	v_add_f64_e32 v[88:89], v[124:125], v[98:99]
	v_add_f64_e32 v[5:6], v[60:61], v[5:6]
	v_add_f64_e32 v[30:31], v[62:63], v[30:31]
	v_add_f64_e32 v[50:51], v[128:129], v[50:51]
	v_add_f64_e32 v[42:43], v[102:103], v[42:43]
	v_add_f64_e32 v[46:47], v[46:47], v[52:53]
	v_fma_f64 v[66:67], v[70:71], s[44:45], v[140:141]
	v_add_f64_e32 v[7:8], v[110:111], v[7:8]
	v_fma_f64 v[70:71], v[23:24], s[38:39], -v[148:149]
	v_fma_f64 v[140:141], v[21:22], s[40:41], v[150:151]
	v_fma_f64 v[142:143], v[23:24], s[38:39], v[148:149]
	v_fma_f64 v[52:53], v[23:24], s[30:31], -v[154:155]
	v_fma_f64 v[60:61], v[23:24], s[18:19], v[156:157]
	v_fma_f64 v[62:63], v[23:24], s[18:19], -v[156:157]
	;; [unrolled: 2-line block ×3, first 2 shown]
	v_fma_f64 v[102:103], v[21:22], s[28:29], v[158:159]
	v_fma_f64 v[104:105], v[21:22], s[10:11], v[160:161]
	;; [unrolled: 1-line block ×6, first 2 shown]
	v_add_f64_e32 v[13:14], v[17:18], v[13:14]
	v_add_f64_e32 v[15:16], v[19:20], v[15:16]
	v_fma_f64 v[17:18], v[23:24], s[6:7], -v[152:153]
	v_fma_f64 v[19:20], v[23:24], s[30:31], v[154:155]
	v_fma_f64 v[23:24], v[21:22], s[44:45], v[158:159]
	v_fma_f64 v[74:75], v[21:22], s[34:35], v[74:75]
	v_add_f64_e32 v[21:22], v[82:83], v[54:55]
	v_add_f64_e32 v[54:55], v[56:57], v[64:65]
	;; [unrolled: 1-line block ×20, first 2 shown]
	v_mul_lo_u16 v5, 0xbb, v25
	s_delay_alu instid0(VALU_DEP_1)
	v_lshrrev_b16 v31, 11, v5
	v_add_f64_e32 v[90:91], v[13:14], v[9:10]
	v_add_f64_e32 v[92:93], v[15:16], v[11:12]
	;; [unrolled: 1-line block ×22, first 2 shown]
	v_mul_lo_u16 v26, v31, 11
	s_delay_alu instid0(VALU_DEP_1) | instskip(SKIP_1) | instid1(VALU_DEP_2)
	v_sub_nc_u16 v25, v25, v26
	v_mad_u32_u24 v26, 0xa0, v29, v101
	v_and_b32_e32 v30, 0xff, v25
	v_add_f64_e32 v[1:2], v[90:91], v[1:2]
	v_add_f64_e32 v[3:4], v[92:93], v[3:4]
	ds_store_b128 v26, v[13:16] offset:32
	ds_store_b128 v26, v[21:24] offset:48
	;; [unrolled: 1-line block ×10, first 2 shown]
	ds_store_b128 v26, v[1:4]
	v_mul_u32_u24_e32 v25, 10, v30
	global_wb scope:SCOPE_SE
	s_wait_dscnt 0x0
	s_barrier_signal -1
	s_barrier_wait -1
	global_inv scope:SCOPE_SE
	v_lshlrev_b32_e32 v27, 4, v25
	s_clause 0x9
	global_load_b128 v[5:8], v27, s[4:5]
	global_load_b128 v[11:14], v27, s[4:5] offset:144
	global_load_b128 v[15:18], v27, s[4:5] offset:16
	;; [unrolled: 1-line block ×9, first 2 shown]
	ds_load_b128 v[52:55], v101 offset:1936
	ds_load_b128 v[1:4], v101
	ds_load_b128 v[56:59], v101 offset:19360
	ds_load_b128 v[60:63], v101 offset:3872
	;; [unrolled: 1-line block ×9, first 2 shown]
	global_wb scope:SCOPE_SE
	s_wait_loadcnt_dscnt 0x0
	s_barrier_signal -1
	s_barrier_wait -1
	global_inv scope:SCOPE_SE
	v_mul_f64_e32 v[9:10], v[54:55], v[7:8]
	v_mul_f64_e32 v[7:8], v[52:53], v[7:8]
	;; [unrolled: 1-line block ×20, first 2 shown]
	v_fma_f64 v[52:53], v[52:53], v[5:6], v[9:10]
	v_fma_f64 v[54:55], v[54:55], v[5:6], -v[7:8]
	v_fma_f64 v[5:6], v[58:59], v[11:12], -v[27:28]
	;; [unrolled: 1-line block ×5, first 2 shown]
	v_fma_f64 v[60:61], v[60:61], v[15:16], v[17:18]
	v_fma_f64 v[11:12], v[56:57], v[11:12], v[13:14]
	;; [unrolled: 1-line block ×5, first 2 shown]
	v_fma_f64 v[23:24], v[88:89], v[48:49], -v[50:51]
	v_fma_f64 v[9:10], v[74:75], v[32:33], -v[102:103]
	v_fma_f64 v[15:16], v[72:73], v[32:33], v[34:35]
	v_fma_f64 v[32:33], v[78:79], v[36:37], v[104:105]
	v_fma_f64 v[34:35], v[80:81], v[36:37], -v[38:39]
	v_fma_f64 v[17:18], v[92:93], v[44:45], -v[108:109]
	v_fma_f64 v[19:20], v[90:91], v[44:45], v[46:47]
	v_fma_f64 v[25:26], v[82:83], v[40:41], v[106:107]
	v_fma_f64 v[27:28], v[84:85], v[40:41], -v[42:43]
	v_add_f64_e32 v[66:67], v[1:2], v[52:53]
	v_add_f64_e32 v[70:71], v[3:4], v[54:55]
	v_add_f64_e64 v[36:37], v[54:55], -v[5:6]
	v_add_f64_e32 v[38:39], v[54:55], v[5:6]
	v_add_f64_e64 v[40:41], v[58:59], -v[7:8]
	v_add_f64_e32 v[42:43], v[58:59], v[7:8]
	v_add_f64_e32 v[54:55], v[52:53], v[11:12]
	v_add_f64_e64 v[52:53], v[52:53], -v[11:12]
	v_add_f64_e64 v[44:45], v[62:63], -v[9:10]
	v_add_f64_e32 v[46:47], v[62:63], v[9:10]
	v_add_f64_e32 v[64:65], v[56:57], v[15:16]
	v_add_f64_e64 v[68:69], v[34:35], -v[17:18]
	v_add_f64_e32 v[82:83], v[34:35], v[17:18]
	v_add_f64_e64 v[84:85], v[32:33], -v[19:20]
	;; [unrolled: 2-line block ×3, first 2 shown]
	v_add_f64_e64 v[78:79], v[27:28], -v[23:24]
	v_add_f64_e32 v[80:81], v[27:28], v[23:24]
	v_add_f64_e32 v[48:49], v[66:67], v[60:61]
	;; [unrolled: 1-line block ×3, first 2 shown]
	v_mul_f64_e32 v[86:87], s[12:13], v[36:37]
	v_mul_f64_e32 v[88:89], s[6:7], v[38:39]
	;; [unrolled: 1-line block ×10, first 2 shown]
	v_add_f64_e32 v[70:71], v[32:33], v[19:20]
	v_add_f64_e32 v[58:59], v[60:61], v[13:14]
	v_add_f64_e64 v[60:61], v[60:61], -v[13:14]
	v_add_f64_e64 v[66:67], v[56:57], -v[15:16]
	v_mul_f64_e32 v[104:105], s[10:11], v[40:41]
	v_mul_f64_e32 v[106:107], s[18:19], v[42:43]
	;; [unrolled: 1-line block ×22, first 2 shown]
	v_add_f64_e32 v[48:49], v[48:49], v[56:57]
	v_add_f64_e32 v[50:51], v[50:51], v[62:63]
	v_mul_f64_e32 v[56:57], s[28:29], v[40:41]
	v_mul_f64_e32 v[62:63], s[46:47], v[40:41]
	;; [unrolled: 1-line block ×3, first 2 shown]
	v_fma_f64 v[164:165], v[54:55], s[18:19], v[90:91]
	v_fma_f64 v[166:167], v[52:53], s[36:37], v[92:93]
	v_fma_f64 v[90:91], v[54:55], s[18:19], -v[90:91]
	v_fma_f64 v[168:169], v[54:55], s[26:27], v[94:95]
	v_fma_f64 v[170:171], v[52:53], s[42:43], v[96:97]
	v_fma_f64 v[94:95], v[54:55], s[26:27], -v[94:95]
	;; [unrolled: 3-line block ×4, first 2 shown]
	v_fma_f64 v[38:39], v[52:53], s[40:41], v[38:39]
	v_fma_f64 v[102:103], v[52:53], s[28:29], v[102:103]
	;; [unrolled: 1-line block ×4, first 2 shown]
	v_fma_f64 v[180:181], v[64:65], s[26:27], -v[108:109]
	v_fma_f64 v[182:183], v[66:67], s[20:21], v[110:111]
	v_fma_f64 v[188:189], v[58:59], s[26:27], v[112:113]
	v_fma_f64 v[112:113], v[58:59], s[26:27], -v[112:113]
	v_fma_f64 v[192:193], v[60:61], s[12:13], v[42:43]
	v_fma_f64 v[42:43], v[60:61], s[34:35], v[42:43]
	;; [unrolled: 1-line block ×3, first 2 shown]
	v_fma_f64 v[122:123], v[64:65], s[18:19], -v[122:123]
	v_fma_f64 v[196:197], v[64:65], s[6:7], v[124:125]
	v_fma_f64 v[124:125], v[64:65], s[6:7], -v[124:125]
	v_fma_f64 v[198:199], v[64:65], s[30:31], v[44:45]
	v_fma_f64 v[44:45], v[64:65], s[30:31], -v[44:45]
	v_mul_f64_e32 v[140:141], s[30:31], v[82:83]
	v_mul_f64_e32 v[142:143], s[26:27], v[82:83]
	;; [unrolled: 1-line block ×5, first 2 shown]
	v_add_f64_e32 v[32:33], v[48:49], v[32:33]
	v_add_f64_e32 v[34:35], v[50:51], v[34:35]
	v_fma_f64 v[48:49], v[54:55], s[6:7], v[86:87]
	v_fma_f64 v[50:51], v[52:53], s[34:35], v[88:89]
	v_fma_f64 v[86:87], v[54:55], s[6:7], -v[86:87]
	v_fma_f64 v[88:89], v[52:53], s[12:13], v[88:89]
	v_fma_f64 v[52:53], v[58:59], s[18:19], -v[104:105]
	v_fma_f64 v[54:55], v[60:61], s[10:11], v[106:107]
	v_fma_f64 v[104:105], v[58:59], s[18:19], v[104:105]
	v_fma_f64 v[184:185], v[58:59], s[30:31], v[56:57]
	v_fma_f64 v[56:57], v[58:59], s[30:31], -v[56:57]
	v_fma_f64 v[186:187], v[58:59], s[38:39], v[62:63]
	v_fma_f64 v[62:63], v[58:59], s[38:39], -v[62:63]
	v_fma_f64 v[190:191], v[58:59], s[6:7], v[40:41]
	;; [unrolled: 2-line block ×3, first 2 shown]
	v_fma_f64 v[106:107], v[60:61], s[44:45], v[114:115]
	v_fma_f64 v[114:115], v[60:61], s[28:29], v[114:115]
	v_add_f64_e32 v[90:91], v[1:2], v[90:91]
	v_add_f64_e32 v[94:95], v[1:2], v[94:95]
	;; [unrolled: 1-line block ×5, first 2 shown]
	v_mul_f64_e32 v[152:153], s[34:35], v[78:79]
	v_mul_f64_e32 v[158:159], s[6:7], v[80:81]
	;; [unrolled: 1-line block ×4, first 2 shown]
	v_fma_f64 v[200:201], v[70:71], s[6:7], v[136:137]
	v_mul_f64_e32 v[156:157], s[36:37], v[78:79]
	v_mul_f64_e32 v[162:163], s[18:19], v[80:81]
	v_fma_f64 v[202:203], v[70:71], s[38:39], v[138:139]
	v_mul_f64_e32 v[148:149], s[40:41], v[78:79]
	v_mul_f64_e32 v[150:151], s[38:39], v[80:81]
	;; [unrolled: 1-line block ×4, first 2 shown]
	v_fma_f64 v[136:137], v[70:71], s[6:7], -v[136:137]
	v_fma_f64 v[138:139], v[70:71], s[38:39], -v[138:139]
	v_add_f64_e32 v[25:26], v[32:33], v[25:26]
	v_add_f64_e32 v[27:28], v[34:35], v[27:28]
	v_fma_f64 v[32:33], v[60:61], s[40:41], v[116:117]
	v_fma_f64 v[34:35], v[60:61], s[46:47], v[116:117]
	;; [unrolled: 1-line block ×6, first 2 shown]
	v_fma_f64 v[120:121], v[64:65], s[38:39], -v[120:121]
	v_fma_f64 v[64:65], v[66:67], s[42:43], v[110:111]
	v_add_f64_e32 v[86:87], v[1:2], v[86:87]
	v_add_f64_e32 v[88:89], v[3:4], v[88:89]
	;; [unrolled: 1-line block ×15, first 2 shown]
	v_fma_f64 v[50:51], v[66:67], s[10:11], v[128:129]
	v_add_f64_e32 v[56:57], v[56:57], v[90:91]
	v_add_f64_e32 v[62:63], v[62:63], v[94:95]
	v_fma_f64 v[102:103], v[66:67], s[36:37], v[128:129]
	v_fma_f64 v[128:129], v[66:67], s[12:13], v[130:131]
	v_add_f64_e32 v[98:99], v[112:113], v[98:99]
	v_fma_f64 v[178:179], v[70:71], s[26:27], v[134:135]
	v_fma_f64 v[112:113], v[84:85], s[46:47], v[146:147]
	v_fma_f64 v[134:135], v[70:71], s[26:27], -v[134:135]
	v_add_f64_e32 v[21:22], v[25:26], v[21:22]
	v_add_f64_e32 v[23:24], v[27:28], v[23:24]
	v_fma_f64 v[25:26], v[66:67], s[40:41], v[126:127]
	v_fma_f64 v[27:28], v[66:67], s[46:47], v[126:127]
	;; [unrolled: 1-line block ×5, first 2 shown]
	v_add_f64_e32 v[34:35], v[34:35], v[96:97]
	v_fma_f64 v[66:67], v[70:71], s[30:31], -v[132:133]
	v_fma_f64 v[96:97], v[84:85], s[12:13], v[144:145]
	v_add_f64_e32 v[52:53], v[52:53], v[86:87]
	v_add_f64_e32 v[54:55], v[54:55], v[88:89]
	;; [unrolled: 1-line block ×16, first 2 shown]
	v_fma_f64 v[42:43], v[84:85], s[28:29], v[140:141]
	v_fma_f64 v[92:93], v[84:85], s[34:35], v[144:145]
	;; [unrolled: 1-line block ×6, first 2 shown]
	v_add_f64_e32 v[56:57], v[120:121], v[56:57]
	v_fma_f64 v[58:59], v[84:85], s[44:45], v[140:141]
	v_fma_f64 v[118:119], v[74:75], s[40:41], v[150:151]
	;; [unrolled: 1-line block ×4, first 2 shown]
	v_add_f64_e32 v[19:20], v[21:22], v[19:20]
	v_add_f64_e32 v[17:18], v[23:24], v[17:18]
	v_fma_f64 v[21:22], v[70:71], s[18:19], v[68:69]
	v_fma_f64 v[23:24], v[70:71], s[18:19], -v[68:69]
	v_fma_f64 v[68:69], v[84:85], s[20:21], v[142:143]
	v_fma_f64 v[70:71], v[84:85], s[42:43], v[142:143]
	;; [unrolled: 1-line block ×3, first 2 shown]
	v_add_f64_e32 v[34:35], v[102:103], v[34:35]
	v_fma_f64 v[102:103], v[74:75], s[12:13], v[158:159]
	v_fma_f64 v[84:85], v[72:73], s[38:39], -v[148:149]
	v_add_f64_e32 v[52:53], v[180:181], v[52:53]
	v_add_f64_e32 v[54:55], v[182:183], v[54:55]
	;; [unrolled: 1-line block ×18, first 2 shown]
	v_fma_f64 v[106:107], v[74:75], s[44:45], v[160:161]
	v_fma_f64 v[44:45], v[72:73], s[18:19], v[156:157]
	;; [unrolled: 1-line block ×3, first 2 shown]
	v_fma_f64 v[40:41], v[72:73], s[30:31], -v[154:155]
	v_fma_f64 v[46:47], v[72:73], s[18:19], -v[156:157]
	v_fma_f64 v[64:65], v[72:73], s[26:27], v[78:79]
	v_fma_f64 v[104:105], v[74:75], s[34:35], v[158:159]
	v_fma_f64 v[108:109], v[74:75], s[28:29], v[160:161]
	v_fma_f64 v[122:123], v[74:75], s[42:43], v[80:81]
	v_add_f64_e32 v[56:57], v[134:135], v[56:57]
	v_add_f64_e32 v[15:16], v[19:20], v[15:16]
	;; [unrolled: 1-line block ×3, first 2 shown]
	v_fma_f64 v[19:20], v[72:73], s[30:31], v[154:155]
	v_fma_f64 v[17:18], v[72:73], s[6:7], -v[152:153]
	v_fma_f64 v[72:73], v[72:73], s[26:27], -v[78:79]
	v_fma_f64 v[78:79], v[74:75], s[46:47], v[150:151]
	v_fma_f64 v[74:75], v[74:75], s[20:21], v[80:81]
	v_add_f64_e32 v[52:53], v[66:67], v[52:53]
	v_add_f64_e32 v[42:43], v[42:43], v[54:55]
	;; [unrolled: 1-line block ×43, first 2 shown]
	v_and_b32_e32 v5, 0xffff, v31
	v_mul_u32_u24_e32 v6, 10, v29
	v_lshlrev_b32_e32 v11, 4, v30
	s_delay_alu instid0(VALU_DEP_3) | instskip(NEXT) | instid1(VALU_DEP_3)
	v_mul_u32_u24_e32 v5, 0x790, v5
	v_lshlrev_b32_e32 v12, 4, v6
	s_delay_alu instid0(VALU_DEP_2)
	v_add3_u32 v5, 0, v5, v11
	ds_store_b128 v5, v[13:16] offset:352
	ds_store_b128 v5, v[21:24] offset:528
	;; [unrolled: 1-line block ×10, first 2 shown]
	ds_store_b128 v5, v[48:51]
	global_wb scope:SCOPE_SE
	s_wait_dscnt 0x0
	s_barrier_signal -1
	s_barrier_wait -1
	global_inv scope:SCOPE_SE
	s_clause 0x9
	global_load_b128 v[78:81], v12, s[4:5] offset:1760
	global_load_b128 v[5:8], v12, s[4:5] offset:1904
	;; [unrolled: 1-line block ×10, first 2 shown]
	ds_load_b128 v[82:85], v101 offset:1936
	ds_load_b128 v[1:4], v101
	ds_load_b128 v[49:52], v101 offset:19360
	ds_load_b128 v[73:76], v101 offset:3872
	;; [unrolled: 1-line block ×9, first 2 shown]
	s_mul_i32 s4, s3, 0x79
	global_wb scope:SCOPE_SE
	s_wait_loadcnt_dscnt 0x0
	s_barrier_signal -1
	s_barrier_wait -1
	global_inv scope:SCOPE_SE
	v_mul_f64_e32 v[86:87], v[84:85], v[80:81]
	v_mul_f64_e32 v[80:81], v[82:83], v[80:81]
	;; [unrolled: 1-line block ×9, first 2 shown]
	v_fma_f64 v[39:40], v[82:83], v[78:79], v[86:87]
	v_fma_f64 v[78:79], v[84:85], v[78:79], -v[80:81]
	v_mul_f64_e32 v[86:87], v[67:68], v[35:36]
	v_mul_f64_e32 v[35:36], v[55:56], v[23:24]
	;; [unrolled: 1-line block ×10, first 2 shown]
	v_fma_f64 v[7:8], v[51:52], v[5:6], -v[102:103]
	v_fma_f64 v[51:52], v[75:76], v[37:38], -v[92:93]
	v_fma_f64 v[67:68], v[67:68], v[33:34], -v[98:99]
	v_fma_f64 v[37:38], v[73:74], v[37:38], v[90:91]
	v_mul_lo_u32 v76, v0, s3
	v_mul_f64_e32 v[11:12], v[45:46], v[11:12]
	v_fma_f64 v[55:56], v[55:56], v[21:22], -v[94:95]
	v_fma_f64 v[63:64], v[63:64], v[25:26], -v[96:97]
	v_fma_f64 v[5:6], v[49:50], v[5:6], v[88:89]
	v_add_f64_e32 v[73:74], v[1:2], v[39:40]
	v_add_f64_e32 v[90:91], v[3:4], v[78:79]
	v_fma_f64 v[33:34], v[65:66], v[33:34], v[86:87]
	v_fma_f64 v[21:22], v[53:54], v[21:22], v[35:36]
	v_fma_f64 v[35:36], v[71:72], v[29:30], -v[82:83]
	v_fma_f64 v[29:30], v[69:70], v[29:30], v[31:32]
	v_lshlrev_b64_e32 v[31:32], 4, v[76:77]
	v_fma_f64 v[23:24], v[45:46], v[9:10], v[23:24]
	v_fma_f64 v[25:26], v[61:62], v[25:26], v[84:85]
	;; [unrolled: 1-line block ×4, first 2 shown]
	v_fma_f64 v[13:14], v[43:44], v[13:14], -v[15:16]
	s_wait_alu 0xfffe
	v_add_co_u32 v45, vcc_lo, s0, v31
	s_wait_alu 0xfffd
	v_add_co_ci_u32_e32 v46, vcc_lo, s1, v32, vcc_lo
	v_add_f64_e64 v[31:32], v[51:52], -v[67:68]
	v_add_f64_e32 v[43:44], v[51:52], v[67:68]
	v_fma_f64 v[9:10], v[47:48], v[9:10], -v[11:12]
	v_add_f64_e64 v[11:12], v[78:79], -v[7:8]
	v_add_f64_e32 v[15:16], v[78:79], v[7:8]
	v_fma_f64 v[17:18], v[59:60], v[17:18], -v[80:81]
	v_add_f64_e32 v[61:62], v[39:40], v[5:6]
	v_add_f64_e64 v[39:40], v[39:40], -v[5:6]
	v_add_f64_e64 v[47:48], v[55:56], -v[63:64]
	v_add_f64_e32 v[49:50], v[55:56], v[63:64]
	v_add_nc_u32_e32 v76, s4, v76
	s_delay_alu instid0(VALU_DEP_1) | instskip(SKIP_1) | instid1(VALU_DEP_1)
	v_lshlrev_b64_e32 v[41:42], 4, v[76:77]
	v_add_nc_u32_e32 v76, s4, v76
	v_lshlrev_b64_e32 v[57:58], 4, v[76:77]
	v_add_f64_e32 v[53:54], v[73:74], v[37:38]
	v_add_f64_e32 v[51:52], v[90:91], v[51:52]
	;; [unrolled: 1-line block ×3, first 2 shown]
	v_add_f64_e64 v[37:38], v[37:38], -v[33:34]
	v_add_nc_u32_e32 v76, s4, v76
	v_add_co_u32 v59, vcc_lo, s0, v41
	s_wait_alu 0xfffd
	v_add_co_ci_u32_e32 v60, vcc_lo, s1, v42, vcc_lo
	v_add_f64_e32 v[69:70], v[21:22], v[25:26]
	v_add_f64_e64 v[71:72], v[21:22], -v[25:26]
	v_add_f64_e32 v[78:79], v[27:28], v[29:30]
	v_add_f64_e64 v[82:83], v[27:28], -v[29:30]
	;; [unrolled: 2-line block ×3, first 2 shown]
	v_lshlrev_b64_e32 v[41:42], 4, v[76:77]
	v_mul_f64_e32 v[110:111], s[10:11], v[31:32]
	v_mul_f64_e32 v[112:113], s[18:19], v[43:44]
	;; [unrolled: 1-line block ×13, first 2 shown]
	v_add_f64_e64 v[73:74], v[17:18], -v[35:36]
	v_add_f64_e32 v[80:81], v[17:18], v[35:36]
	v_mul_f64_e32 v[126:127], s[38:39], v[43:44]
	v_mul_f64_e32 v[124:125], s[42:43], v[31:32]
	v_mul_f64_e32 v[128:129], s[26:27], v[43:44]
	v_add_f64_e64 v[88:89], v[13:14], -v[9:10]
	v_add_f64_e32 v[90:91], v[13:14], v[9:10]
	v_mul_f64_e32 v[114:115], s[20:21], v[47:48]
	v_mul_f64_e32 v[118:119], s[46:47], v[47:48]
	v_add_f64_e32 v[21:22], v[53:54], v[21:22]
	v_add_f64_e32 v[51:52], v[51:52], v[55:56]
	v_mul_f64_e32 v[53:54], s[28:29], v[31:32]
	v_mul_f64_e32 v[55:56], s[30:31], v[43:44]
	;; [unrolled: 1-line block ×12, first 2 shown]
	v_add_nc_u32_e32 v76, s4, v76
	v_add_co_u32 v57, vcc_lo, s0, v57
	v_fma_f64 v[184:185], v[37:38], s[10:11], v[112:113]
	v_fma_f64 v[196:197], v[65:66], s[38:39], v[122:123]
	v_fma_f64 v[122:123], v[65:66], s[38:39], -v[122:123]
	s_wait_alu 0xfffd
	v_add_co_ci_u32_e32 v58, vcc_lo, s1, v58, vcc_lo
	v_fma_f64 v[170:171], v[61:62], s[18:19], v[96:97]
	v_fma_f64 v[172:173], v[39:40], s[36:37], v[98:99]
	;; [unrolled: 1-line block ×6, first 2 shown]
	v_fma_f64 v[96:97], v[61:62], s[18:19], -v[96:97]
	v_fma_f64 v[102:103], v[61:62], s[26:27], -v[102:103]
	;; [unrolled: 1-line block ×3, first 2 shown]
	v_fma_f64 v[182:183], v[61:62], s[38:39], v[11:12]
	v_fma_f64 v[11:12], v[61:62], s[38:39], -v[11:12]
	v_fma_f64 v[108:109], v[39:40], s[28:29], v[108:109]
	v_fma_f64 v[104:105], v[39:40], s[20:21], v[104:105]
	;; [unrolled: 1-line block ×4, first 2 shown]
	v_fma_f64 v[124:125], v[65:66], s[26:27], -v[124:125]
	v_add_f64_e32 v[21:22], v[21:22], v[27:28]
	v_add_f64_e32 v[17:18], v[51:52], v[17:18]
	v_fma_f64 v[27:28], v[61:62], s[6:7], v[92:93]
	v_fma_f64 v[51:52], v[39:40], s[34:35], v[94:95]
	v_fma_f64 v[92:93], v[61:62], s[6:7], -v[92:93]
	v_fma_f64 v[94:95], v[39:40], s[12:13], v[94:95]
	v_fma_f64 v[61:62], v[39:40], s[46:47], v[15:16]
	v_fma_f64 v[15:16], v[39:40], s[40:41], v[15:16]
	v_fma_f64 v[39:40], v[65:66], s[18:19], -v[110:111]
	v_fma_f64 v[190:191], v[65:66], s[30:31], v[53:54]
	;; [unrolled: 4-line block ×3, first 2 shown]
	v_fma_f64 v[31:32], v[65:66], s[6:7], -v[31:32]
	v_fma_f64 v[65:66], v[37:38], s[36:37], v[112:113]
	v_fma_f64 v[112:113], v[37:38], s[20:21], v[128:129]
	v_mul_f64_e32 v[138:139], s[28:29], v[73:74]
	v_mul_f64_e32 v[140:141], s[42:43], v[73:74]
	;; [unrolled: 1-line block ×3, first 2 shown]
	v_fma_f64 v[186:187], v[69:70], s[26:27], -v[114:115]
	v_fma_f64 v[194:195], v[69:70], s[38:39], v[118:119]
	v_add_f64_e32 v[170:171], v[1:2], v[170:171]
	v_add_f64_e32 v[172:173], v[3:4], v[172:173]
	;; [unrolled: 1-line block ×10, first 2 shown]
	v_fma_f64 v[202:203], v[69:70], s[6:7], v[132:133]
	v_fma_f64 v[132:133], v[69:70], s[6:7], -v[132:133]
	v_add_f64_e32 v[104:105], v[3:4], v[104:105]
	v_add_f64_e32 v[98:99], v[3:4], v[98:99]
	v_fma_f64 v[204:205], v[69:70], s[30:31], v[47:48]
	v_fma_f64 v[47:48], v[69:70], s[30:31], -v[47:48]
	v_add_f64_e32 v[19:20], v[21:22], v[19:20]
	v_add_f64_e32 v[13:14], v[17:18], v[13:14]
	v_fma_f64 v[21:22], v[37:38], s[40:41], v[126:127]
	v_fma_f64 v[17:18], v[37:38], s[28:29], v[55:56]
	v_add_f64_e32 v[92:93], v[1:2], v[92:93]
	v_add_f64_e32 v[94:95], v[3:4], v[94:95]
	v_fma_f64 v[55:56], v[37:38], s[46:47], v[126:127]
	v_fma_f64 v[126:127], v[37:38], s[42:43], v[128:129]
	;; [unrolled: 1-line block ×3, first 2 shown]
	v_add_f64_e32 v[27:28], v[1:2], v[27:28]
	v_add_f64_e32 v[61:62], v[3:4], v[61:62]
	v_fma_f64 v[37:38], v[37:38], s[34:35], v[43:44]
	v_add_f64_e32 v[0:1], v[1:2], v[11:12]
	v_add_f64_e32 v[11:12], v[3:4], v[15:16]
	;; [unrolled: 1-line block ×4, first 2 shown]
	v_fma_f64 v[43:44], v[69:70], s[26:27], v[114:115]
	v_fma_f64 v[114:115], v[69:70], s[38:39], -v[118:119]
	v_fma_f64 v[118:119], v[69:70], s[18:19], v[130:131]
	v_fma_f64 v[130:131], v[69:70], s[18:19], -v[130:131]
	v_fma_f64 v[69:70], v[71:72], s[40:41], v[120:121]
	v_mul_f64_e32 v[142:143], s[12:13], v[73:74]
	v_mul_f64_e32 v[144:145], s[40:41], v[73:74]
	;; [unrolled: 1-line block ×4, first 2 shown]
	v_fma_f64 v[51:52], v[71:72], s[10:11], v[134:135]
	v_mul_f64_e32 v[152:153], s[38:39], v[80:81]
	v_fma_f64 v[188:189], v[71:72], s[20:21], v[116:117]
	v_add_f64_e32 v[112:113], v[112:113], v[180:181]
	v_mul_f64_e32 v[146:147], s[30:31], v[80:81]
	v_mul_f64_e32 v[80:81], s[18:19], v[80:81]
	v_fma_f64 v[108:109], v[71:72], s[36:37], v[134:135]
	v_fma_f64 v[134:135], v[71:72], s[44:45], v[49:50]
	v_add_f64_e32 v[53:54], v[53:54], v[96:97]
	v_add_f64_e32 v[96:97], v[122:123], v[102:103]
	;; [unrolled: 1-line block ×4, first 2 shown]
	v_fma_f64 v[49:50], v[71:72], s[28:29], v[49:50]
	v_add_f64_e32 v[19:20], v[19:20], v[23:24]
	v_add_f64_e32 v[9:10], v[13:14], v[9:10]
	;; [unrolled: 1-line block ×3, first 2 shown]
	v_fma_f64 v[13:14], v[71:72], s[42:43], v[116:117]
	v_add_f64_e32 v[39:40], v[39:40], v[92:93]
	v_add_f64_e32 v[92:93], v[184:185], v[94:95]
	;; [unrolled: 1-line block ×5, first 2 shown]
	v_fma_f64 v[116:117], v[71:72], s[34:35], v[136:137]
	v_add_f64_e32 v[174:175], v[198:199], v[178:179]
	v_add_f64_e32 v[27:28], v[110:111], v[27:28]
	;; [unrolled: 1-line block ×5, first 2 shown]
	v_fma_f64 v[23:24], v[71:72], s[46:47], v[120:121]
	v_fma_f64 v[120:121], v[71:72], s[12:13], v[136:137]
	v_add_f64_e32 v[15:16], v[126:127], v[15:16]
	v_add_f64_e32 v[31:32], v[55:56], v[104:105]
	;; [unrolled: 1-line block ×4, first 2 shown]
	v_mul_f64_e32 v[158:159], s[34:35], v[88:89]
	v_mul_f64_e32 v[160:161], s[6:7], v[90:91]
	v_fma_f64 v[71:72], v[78:79], s[30:31], -v[138:139]
	v_fma_f64 v[136:137], v[78:79], s[30:31], v[138:139]
	v_fma_f64 v[138:139], v[78:79], s[26:27], v[140:141]
	;; [unrolled: 1-line block ×3, first 2 shown]
	v_mul_f64_e32 v[162:163], s[28:29], v[88:89]
	v_mul_f64_e32 v[166:167], s[30:31], v[90:91]
	v_fma_f64 v[140:141], v[78:79], s[26:27], -v[140:141]
	v_fma_f64 v[206:207], v[78:79], s[6:7], v[142:143]
	v_fma_f64 v[142:143], v[78:79], s[6:7], -v[142:143]
	v_fma_f64 v[208:209], v[78:79], s[38:39], v[144:145]
	v_fma_f64 v[144:145], v[78:79], s[38:39], -v[144:145]
	v_mul_f64_e32 v[164:165], s[36:37], v[88:89]
	v_mul_f64_e32 v[168:169], s[18:19], v[90:91]
	v_fma_f64 v[104:105], v[82:83], s[46:47], v[152:153]
	v_mul_f64_e32 v[154:155], s[40:41], v[88:89]
	v_add_f64_e32 v[19:20], v[19:20], v[29:30]
	v_add_f64_e32 v[9:10], v[9:10], v[35:36]
	v_fma_f64 v[29:30], v[78:79], s[18:19], v[73:74]
	v_fma_f64 v[35:36], v[78:79], s[18:19], -v[73:74]
	v_add_f64_e32 v[39:40], v[186:187], v[39:40]
	v_fma_f64 v[78:79], v[82:83], s[34:35], v[150:151]
	v_add_f64_e32 v[94:95], v[194:195], v[94:95]
	v_add_f64_e32 v[69:70], v[69:70], v[170:171]
	;; [unrolled: 1-line block ×6, first 2 shown]
	v_mul_f64_e32 v[156:157], s[38:39], v[90:91]
	v_mul_f64_e32 v[88:89], s[20:21], v[88:89]
	;; [unrolled: 1-line block ×3, first 2 shown]
	v_fma_f64 v[37:38], v[82:83], s[28:29], v[146:147]
	v_fma_f64 v[122:123], v[82:83], s[10:11], v[80:81]
	v_add_f64_e32 v[92:93], v[188:189], v[92:93]
	v_add_f64_e32 v[27:28], v[43:44], v[27:28]
	;; [unrolled: 1-line block ×7, first 2 shown]
	v_fma_f64 v[80:81], v[82:83], s[36:37], v[80:81]
	v_add_f64_e32 v[0:1], v[47:48], v[0:1]
	v_add_f64_e32 v[11:12], v[49:50], v[11:12]
	v_fma_f64 v[110:111], v[82:83], s[40:41], v[152:153]
	v_add_f64_e32 v[15:16], v[120:121], v[15:16]
	v_fma_f64 v[98:99], v[82:83], s[12:13], v[150:151]
	;; [unrolled: 2-line block ×5, first 2 shown]
	v_fma_f64 v[128:129], v[86:87], s[12:13], v[160:161]
	v_fma_f64 v[114:115], v[86:87], s[44:45], v[166:167]
	v_add_f64_e32 v[13:14], v[19:20], v[25:26]
	v_add_f64_e32 v[9:10], v[9:10], v[63:64]
	v_fma_f64 v[19:20], v[84:85], s[30:31], v[162:163]
	v_fma_f64 v[49:50], v[84:85], s[18:19], v[164:165]
	v_add_f64_e32 v[39:40], v[71:72], v[39:40]
	v_fma_f64 v[120:121], v[86:87], s[10:11], v[168:169]
	v_add_f64_e32 v[71:72], v[138:139], v[94:95]
	v_add_f64_e32 v[65:66], v[65:66], v[69:70]
	;; [unrolled: 1-line block ×6, first 2 shown]
	v_fma_f64 v[82:83], v[84:85], s[38:39], -v[154:155]
	v_fma_f64 v[124:125], v[86:87], s[40:41], v[156:157]
	v_fma_f64 v[106:107], v[84:85], s[26:27], v[88:89]
	;; [unrolled: 1-line block ×4, first 2 shown]
	v_add_f64_e32 v[37:38], v[37:38], v[92:93]
	v_fma_f64 v[25:26], v[84:85], s[6:7], -v[158:159]
	v_fma_f64 v[47:48], v[84:85], s[30:31], -v[162:163]
	;; [unrolled: 1-line block ×4, first 2 shown]
	v_add_f64_e32 v[92:93], v[29:30], v[102:103]
	v_add_f64_e32 v[61:62], v[122:123], v[61:62]
	v_fma_f64 v[88:89], v[86:87], s[46:47], v[156:157]
	v_fma_f64 v[108:109], v[86:87], s[34:35], v[160:161]
	;; [unrolled: 1-line block ×5, first 2 shown]
	v_add_f64_e32 v[43:44], v[140:141], v[43:44]
	v_add_f64_e32 v[35:36], v[35:36], v[0:1]
	;; [unrolled: 1-line block ×12, first 2 shown]
	v_lshlrev_b64_e32 v[0:1], 4, v[76:77]
	v_add_co_u32 v98, vcc_lo, s0, v41
	s_wait_alu 0xfffd
	v_add_co_ci_u32_e32 v99, vcc_lo, s1, v42, vcc_lo
	v_add_f64_e32 v[9:10], v[126:127], v[71:72]
	v_add_f64_e32 v[11:12], v[128:129], v[65:66]
	v_add_co_u32 v104, vcc_lo, s0, v0
	v_add_f64_e32 v[13:14], v[19:20], v[69:70]
	v_add_f64_e32 v[15:16], v[114:115], v[21:22]
	;; [unrolled: 1-line block ×4, first 2 shown]
	s_wait_alu 0xfffd
	v_add_co_ci_u32_e32 v105, vcc_lo, s1, v1, vcc_lo
	v_add_f64_e32 v[0:1], v[82:83], v[39:40]
	v_add_f64_e32 v[2:3], v[124:125], v[37:38]
	v_add_nc_u32_e32 v76, s4, v76
	v_add_f64_e32 v[37:38], v[106:107], v[92:93]
	v_add_f64_e32 v[39:40], v[132:133], v[61:62]
	s_delay_alu instid0(VALU_DEP_3)
	v_lshlrev_b64_e32 v[102:103], 4, v[76:77]
	v_add_nc_u32_e32 v76, s4, v76
	v_add_f64_e32 v[25:26], v[25:26], v[43:44]
	v_add_f64_e32 v[41:42], v[84:85], v[35:36]
	;; [unrolled: 1-line block ×12, first 2 shown]
	v_lshlrev_b64_e32 v[110:111], 4, v[76:77]
	v_add_nc_u32_e32 v76, s4, v76
	ds_store_b128 v101, v[9:12] offset:3872
	ds_store_b128 v101, v[13:16] offset:5808
	ds_store_b128 v101, v[17:20] offset:7744
	ds_store_b128 v101, v[37:40] offset:9680
	ds_store_b128 v101, v[41:44] offset:11616
	ds_store_b128 v101, v[33:36] offset:13552
	ds_store_b128 v101, v[29:32] offset:15488
	ds_store_b128 v101, v[25:28] offset:17424
	ds_store_b128 v101, v[0:3] offset:19360
	ds_store_b128 v101, v[21:24] offset:1936
	ds_store_b128 v101, v[4:7]
	v_lshlrev_b64_e32 v[49:50], 4, v[76:77]
	v_add_nc_u32_e32 v76, s4, v76
	global_wb scope:SCOPE_SE
	s_wait_dscnt 0x0
	s_barrier_signal -1
	s_barrier_wait -1
	global_inv scope:SCOPE_SE
	ds_load_b128 v[0:3], v100
	ds_load_b128 v[4:7], v100 offset:1936
	ds_load_b128 v[8:11], v100 offset:3872
	ds_load_b128 v[12:15], v100 offset:5808
	ds_load_b128 v[16:19], v100 offset:7744
	ds_load_b128 v[20:23], v100 offset:9680
	ds_load_b128 v[24:27], v100 offset:11616
	ds_load_b128 v[28:31], v100 offset:13552
	ds_load_b128 v[32:35], v100 offset:15488
	ds_load_b128 v[36:39], v100 offset:17424
	ds_load_b128 v[40:43], v100 offset:19360
	v_lshlrev_b64_e32 v[53:54], 4, v[76:77]
	v_add_nc_u32_e32 v76, s4, v76
	v_add_co_u32 v47, vcc_lo, s0, v102
	s_wait_alu 0xfffd
	v_add_co_ci_u32_e32 v48, vcc_lo, s1, v103, vcc_lo
	v_add_co_u32 v51, vcc_lo, s0, v110
	v_lshlrev_b64_e32 v[55:56], 4, v[76:77]
	v_add_nc_u32_e32 v76, s4, v76
	s_wait_alu 0xfffd
	v_add_co_ci_u32_e32 v52, vcc_lo, s1, v111, vcc_lo
	v_add_co_u32 v49, vcc_lo, s0, v49
	s_wait_alu 0xfffd
	v_add_co_ci_u32_e32 v50, vcc_lo, s1, v50, vcc_lo
	v_add_co_u32 v53, vcc_lo, s0, v53
	v_lshlrev_b64_e32 v[61:62], 4, v[76:77]
	s_wait_alu 0xfffd
	v_add_co_ci_u32_e32 v54, vcc_lo, s1, v54, vcc_lo
	v_add_co_u32 v55, vcc_lo, s0, v55
	s_wait_alu 0xfffd
	v_add_co_ci_u32_e32 v56, vcc_lo, s1, v56, vcc_lo
	v_add_co_u32 v61, vcc_lo, s0, v61
	s_wait_alu 0xfffd
	v_add_co_ci_u32_e32 v62, vcc_lo, s1, v62, vcc_lo
	s_wait_dscnt 0xa
	global_store_b128 v[45:46], v[0:3], off
	s_wait_dscnt 0x9
	global_store_b128 v[59:60], v[4:7], off
	;; [unrolled: 2-line block ×11, first 2 shown]
	s_nop 0
	s_sendmsg sendmsg(MSG_DEALLOC_VGPRS)
	s_endpgm
	.section	.rodata,"a",@progbits
	.p2align	6, 0x0
	.amdhsa_kernel fft_rtc_back_len1331_factors_11_11_11_wgs_121_tpt_121_dp_op_CI_CI_sbrc_z_xy_unaligned
		.amdhsa_group_segment_fixed_size 0
		.amdhsa_private_segment_fixed_size 0
		.amdhsa_kernarg_size 104
		.amdhsa_user_sgpr_count 2
		.amdhsa_user_sgpr_dispatch_ptr 0
		.amdhsa_user_sgpr_queue_ptr 0
		.amdhsa_user_sgpr_kernarg_segment_ptr 1
		.amdhsa_user_sgpr_dispatch_id 0
		.amdhsa_user_sgpr_private_segment_size 0
		.amdhsa_wavefront_size32 1
		.amdhsa_uses_dynamic_stack 0
		.amdhsa_enable_private_segment 0
		.amdhsa_system_sgpr_workgroup_id_x 1
		.amdhsa_system_sgpr_workgroup_id_y 0
		.amdhsa_system_sgpr_workgroup_id_z 0
		.amdhsa_system_sgpr_workgroup_info 0
		.amdhsa_system_vgpr_workitem_id 0
		.amdhsa_next_free_vgpr 210
		.amdhsa_next_free_sgpr 48
		.amdhsa_reserve_vcc 1
		.amdhsa_float_round_mode_32 0
		.amdhsa_float_round_mode_16_64 0
		.amdhsa_float_denorm_mode_32 3
		.amdhsa_float_denorm_mode_16_64 3
		.amdhsa_fp16_overflow 0
		.amdhsa_workgroup_processor_mode 1
		.amdhsa_memory_ordered 1
		.amdhsa_forward_progress 0
		.amdhsa_round_robin_scheduling 0
		.amdhsa_exception_fp_ieee_invalid_op 0
		.amdhsa_exception_fp_denorm_src 0
		.amdhsa_exception_fp_ieee_div_zero 0
		.amdhsa_exception_fp_ieee_overflow 0
		.amdhsa_exception_fp_ieee_underflow 0
		.amdhsa_exception_fp_ieee_inexact 0
		.amdhsa_exception_int_div_zero 0
	.end_amdhsa_kernel
	.text
.Lfunc_end0:
	.size	fft_rtc_back_len1331_factors_11_11_11_wgs_121_tpt_121_dp_op_CI_CI_sbrc_z_xy_unaligned, .Lfunc_end0-fft_rtc_back_len1331_factors_11_11_11_wgs_121_tpt_121_dp_op_CI_CI_sbrc_z_xy_unaligned
                                        ; -- End function
	.section	.AMDGPU.csdata,"",@progbits
; Kernel info:
; codeLenInByte = 9112
; NumSgprs: 50
; NumVgprs: 210
; ScratchSize: 0
; MemoryBound: 0
; FloatMode: 240
; IeeeMode: 1
; LDSByteSize: 0 bytes/workgroup (compile time only)
; SGPRBlocks: 6
; VGPRBlocks: 26
; NumSGPRsForWavesPerEU: 50
; NumVGPRsForWavesPerEU: 210
; Occupancy: 7
; WaveLimiterHint : 1
; COMPUTE_PGM_RSRC2:SCRATCH_EN: 0
; COMPUTE_PGM_RSRC2:USER_SGPR: 2
; COMPUTE_PGM_RSRC2:TRAP_HANDLER: 0
; COMPUTE_PGM_RSRC2:TGID_X_EN: 1
; COMPUTE_PGM_RSRC2:TGID_Y_EN: 0
; COMPUTE_PGM_RSRC2:TGID_Z_EN: 0
; COMPUTE_PGM_RSRC2:TIDIG_COMP_CNT: 0
	.text
	.p2alignl 7, 3214868480
	.fill 96, 4, 3214868480
	.type	__hip_cuid_18b1b4bbb6777287,@object ; @__hip_cuid_18b1b4bbb6777287
	.section	.bss,"aw",@nobits
	.globl	__hip_cuid_18b1b4bbb6777287
__hip_cuid_18b1b4bbb6777287:
	.byte	0                               ; 0x0
	.size	__hip_cuid_18b1b4bbb6777287, 1

	.ident	"AMD clang version 19.0.0git (https://github.com/RadeonOpenCompute/llvm-project roc-6.4.0 25133 c7fe45cf4b819c5991fe208aaa96edf142730f1d)"
	.section	".note.GNU-stack","",@progbits
	.addrsig
	.addrsig_sym __hip_cuid_18b1b4bbb6777287
	.amdgpu_metadata
---
amdhsa.kernels:
  - .args:
      - .actual_access:  read_only
        .address_space:  global
        .offset:         0
        .size:           8
        .value_kind:     global_buffer
      - .offset:         8
        .size:           8
        .value_kind:     by_value
      - .actual_access:  read_only
        .address_space:  global
        .offset:         16
        .size:           8
        .value_kind:     global_buffer
      - .actual_access:  read_only
        .address_space:  global
        .offset:         24
        .size:           8
        .value_kind:     global_buffer
      - .actual_access:  read_only
        .address_space:  global
        .offset:         32
        .size:           8
        .value_kind:     global_buffer
      - .offset:         40
        .size:           8
        .value_kind:     by_value
      - .actual_access:  read_only
        .address_space:  global
        .offset:         48
        .size:           8
        .value_kind:     global_buffer
      - .actual_access:  read_only
        .address_space:  global
        .offset:         56
        .size:           8
        .value_kind:     global_buffer
      - .offset:         64
        .size:           4
        .value_kind:     by_value
      - .actual_access:  read_only
        .address_space:  global
        .offset:         72
        .size:           8
        .value_kind:     global_buffer
      - .actual_access:  read_only
        .address_space:  global
        .offset:         80
        .size:           8
        .value_kind:     global_buffer
      - .actual_access:  read_only
        .address_space:  global
        .offset:         88
        .size:           8
        .value_kind:     global_buffer
      - .actual_access:  write_only
        .address_space:  global
        .offset:         96
        .size:           8
        .value_kind:     global_buffer
    .group_segment_fixed_size: 0
    .kernarg_segment_align: 8
    .kernarg_segment_size: 104
    .language:       OpenCL C
    .language_version:
      - 2
      - 0
    .max_flat_workgroup_size: 121
    .name:           fft_rtc_back_len1331_factors_11_11_11_wgs_121_tpt_121_dp_op_CI_CI_sbrc_z_xy_unaligned
    .private_segment_fixed_size: 0
    .sgpr_count:     50
    .sgpr_spill_count: 0
    .symbol:         fft_rtc_back_len1331_factors_11_11_11_wgs_121_tpt_121_dp_op_CI_CI_sbrc_z_xy_unaligned.kd
    .uniform_work_group_size: 1
    .uses_dynamic_stack: false
    .vgpr_count:     210
    .vgpr_spill_count: 0
    .wavefront_size: 32
    .workgroup_processor_mode: 1
amdhsa.target:   amdgcn-amd-amdhsa--gfx1201
amdhsa.version:
  - 1
  - 2
...

	.end_amdgpu_metadata
